;; amdgpu-corpus repo=ROCm/rocFFT kind=compiled arch=gfx1100 opt=O3
	.text
	.amdgcn_target "amdgcn-amd-amdhsa--gfx1100"
	.amdhsa_code_object_version 6
	.protected	bluestein_single_fwd_len400_dim1_dp_op_CI_CI ; -- Begin function bluestein_single_fwd_len400_dim1_dp_op_CI_CI
	.globl	bluestein_single_fwd_len400_dim1_dp_op_CI_CI
	.p2align	8
	.type	bluestein_single_fwd_len400_dim1_dp_op_CI_CI,@function
bluestein_single_fwd_len400_dim1_dp_op_CI_CI: ; @bluestein_single_fwd_len400_dim1_dp_op_CI_CI
; %bb.0:
	s_load_b128 s[8:11], s[0:1], 0x28
	v_mul_u32_u24_e32 v1, 0x667, v0
	s_mov_b32 s2, exec_lo
	s_delay_alu instid0(VALU_DEP_1) | instskip(NEXT) | instid1(VALU_DEP_1)
	v_lshrrev_b32_e32 v1, 16, v1
	v_mad_u64_u32 v[154:155], null, s15, 3, v[1:2]
	v_mov_b32_e32 v155, 0
	s_waitcnt lgkmcnt(0)
	s_delay_alu instid0(VALU_DEP_1)
	v_cmpx_gt_u64_e64 s[8:9], v[154:155]
	s_cbranch_execz .LBB0_15
; %bb.1:
	s_clause 0x1
	s_load_b128 s[4:7], s[0:1], 0x18
	s_load_b64 s[2:3], s[0:1], 0x0
	v_mul_lo_u16 v1, v1, 40
	v_mul_hi_u32 v100, 0xaaaaaaab, v154
	s_delay_alu instid0(VALU_DEP_2) | instskip(NEXT) | instid1(VALU_DEP_2)
	v_sub_nc_u16 v98, v0, v1
	v_lshrrev_b32_e32 v100, 1, v100
	s_waitcnt lgkmcnt(0)
	s_load_b128 s[12:15], s[4:5], 0x0
	s_waitcnt lgkmcnt(0)
	v_mad_u64_u32 v[24:25], null, s14, v154, 0
	v_and_b32_e32 v157, 0xffff, v98
	s_mul_i32 s5, s13, 0x64
	s_mul_hi_u32 s9, s12, 0x64
	s_mul_hi_u32 s14, s12, 0xfffffefc
	s_add_i32 s5, s9, s5
	s_sub_i32 s9, s14, s12
	s_delay_alu instid0(VALU_DEP_2) | instskip(SKIP_3) | instid1(VALU_DEP_1)
	v_mov_b32_e32 v12, v25
	v_mad_u64_u32 v[26:27], null, s12, v157, 0
	v_lshlrev_b32_e32 v99, 4, v157
	s_mul_i32 s8, s12, 0xfffffefc
	v_add_co_u32 v152, s4, s2, v99
	s_delay_alu instid0(VALU_DEP_3) | instskip(SKIP_1) | instid1(VALU_DEP_3)
	v_mov_b32_e32 v13, v27
	v_add_co_ci_u32_e64 v153, null, s3, 0, s4
	v_add_co_u32 v155, vcc_lo, 0x1000, v152
	s_delay_alu instid0(VALU_DEP_3) | instskip(SKIP_1) | instid1(VALU_DEP_4)
	v_mad_u64_u32 v[27:28], null, s15, v154, v[12:13]
	v_mad_u64_u32 v[28:29], null, s13, v157, v[13:14]
	v_add_co_ci_u32_e32 v156, vcc_lo, 0, v153, vcc_lo
	s_mul_i32 s4, s12, 0x64
	s_mulk_i32 s13, 0xfefc
	s_delay_alu instid0(VALU_DEP_3) | instskip(SKIP_1) | instid1(VALU_DEP_3)
	v_mov_b32_e32 v25, v27
	s_add_i32 s9, s9, s13
	v_mov_b32_e32 v27, v28
	s_lshl_b64 s[12:13], s[8:9], 4
	global_load_b128 v[0:3], v99, s[2:3] offset:3200
	v_lshlrev_b64 v[24:25], 4, v[24:25]
	s_clause 0x1
	global_load_b128 v[4:7], v99, s[2:3]
	global_load_b128 v[8:11], v99, s[2:3] offset:640
	v_lshlrev_b64 v[26:27], 4, v[26:27]
	s_clause 0x2
	global_load_b128 v[12:15], v99, s[2:3] offset:1600
	global_load_b128 v[16:19], v99, s[2:3] offset:2240
	global_load_b128 v[20:23], v[155:156], off offset:704
	v_add_co_u32 v24, vcc_lo, s10, v24
	v_add_co_ci_u32_e32 v25, vcc_lo, s11, v25, vcc_lo
	s_lshl_b64 s[10:11], s[4:5], 4
	s_delay_alu instid0(VALU_DEP_2) | instskip(NEXT) | instid1(VALU_DEP_2)
	v_add_co_u32 v24, vcc_lo, v24, v26
	v_add_co_ci_u32_e32 v25, vcc_lo, v25, v27, vcc_lo
	s_delay_alu instid0(VALU_DEP_2) | instskip(NEXT) | instid1(VALU_DEP_2)
	v_add_co_u32 v26, vcc_lo, v24, s10
	v_add_co_ci_u32_e32 v27, vcc_lo, s11, v25, vcc_lo
	global_load_b128 v[34:37], v[24:25], off
	v_add_co_u32 v28, vcc_lo, v26, s10
	v_add_co_ci_u32_e32 v29, vcc_lo, s11, v27, vcc_lo
	s_clause 0x1
	global_load_b128 v[38:41], v[26:27], off
	global_load_b128 v[42:45], v[28:29], off
	v_add_co_u32 v30, vcc_lo, v28, s10
	v_add_co_ci_u32_e32 v31, vcc_lo, s11, v29, vcc_lo
	s_delay_alu instid0(VALU_DEP_2) | instskip(NEXT) | instid1(VALU_DEP_2)
	v_add_co_u32 v24, vcc_lo, v30, s12
	v_add_co_ci_u32_e32 v25, vcc_lo, s13, v31, vcc_lo
	s_clause 0x1
	global_load_b128 v[46:49], v[30:31], off
	global_load_b128 v[50:53], v[24:25], off
	v_add_co_u32 v26, vcc_lo, v24, s10
	v_add_co_ci_u32_e32 v27, vcc_lo, s11, v25, vcc_lo
	s_delay_alu instid0(VALU_DEP_2) | instskip(NEXT) | instid1(VALU_DEP_2)
	v_add_co_u32 v28, vcc_lo, v26, s10
	v_add_co_ci_u32_e32 v29, vcc_lo, s11, v27, vcc_lo
	global_load_b128 v[54:57], v[26:27], off
	v_add_co_u32 v32, vcc_lo, v28, s10
	v_add_co_ci_u32_e32 v33, vcc_lo, s11, v29, vcc_lo
	global_load_b128 v[24:27], v99, s[2:3] offset:3840
	global_load_b128 v[58:61], v[28:29], off
	global_load_b128 v[28:31], v[155:156], off offset:1344
	global_load_b128 v[62:65], v[32:33], off
	s_load_b64 s[8:9], s[0:1], 0x38
	s_load_b128 s[4:7], s[6:7], 0x0
	v_cmp_gt_u16_e32 vcc_lo, 20, v98
	s_waitcnt vmcnt(9)
	v_mul_f64 v[66:67], v[36:37], v[6:7]
	v_mul_f64 v[68:69], v[34:35], v[6:7]
	s_waitcnt vmcnt(8)
	v_mul_f64 v[70:71], v[40:41], v[14:15]
	s_waitcnt vmcnt(7)
	v_mul_f64 v[74:75], v[44:45], v[2:3]
	v_mul_f64 v[76:77], v[42:43], v[2:3]
	;; [unrolled: 1-line block ×3, first 2 shown]
	s_waitcnt vmcnt(6)
	v_mul_f64 v[78:79], v[48:49], v[22:23]
	s_waitcnt vmcnt(5)
	v_mul_f64 v[80:81], v[52:53], v[10:11]
	v_mul_f64 v[82:83], v[50:51], v[10:11]
	v_mul_f64 v[88:89], v[46:47], v[22:23]
	s_waitcnt vmcnt(4)
	v_mul_f64 v[84:85], v[56:57], v[18:19]
	v_mul_f64 v[86:87], v[54:55], v[18:19]
	s_waitcnt vmcnt(2)
	v_mul_f64 v[90:91], v[60:61], v[26:27]
	v_mul_f64 v[92:93], v[58:59], v[26:27]
	;; [unrolled: 3-line block ×3, first 2 shown]
	v_fma_f64 v[34:35], v[34:35], v[4:5], v[66:67]
	v_fma_f64 v[36:37], v[36:37], v[4:5], -v[68:69]
	v_lshl_add_u32 v66, v100, 1, v100
	v_fma_f64 v[38:39], v[38:39], v[12:13], v[70:71]
	v_fma_f64 v[42:43], v[42:43], v[0:1], v[74:75]
	v_fma_f64 v[44:45], v[44:45], v[0:1], -v[76:77]
	v_fma_f64 v[40:41], v[40:41], v[12:13], -v[72:73]
	v_sub_nc_u32_e32 v66, v154, v66
	s_delay_alu instid0(VALU_DEP_1)
	v_mul_u32_u24_e32 v66, 0x190, v66
	v_fma_f64 v[46:47], v[46:47], v[20:21], v[78:79]
	v_fma_f64 v[50:51], v[50:51], v[8:9], v[80:81]
	v_fma_f64 v[52:53], v[52:53], v[8:9], -v[82:83]
	v_fma_f64 v[48:49], v[48:49], v[20:21], -v[88:89]
	v_lshlrev_b32_e32 v159, 4, v66
	s_delay_alu instid0(VALU_DEP_1)
	v_add_nc_u32_e32 v158, v99, v159
	v_fma_f64 v[54:55], v[54:55], v[16:17], v[84:85]
	v_fma_f64 v[56:57], v[56:57], v[16:17], -v[86:87]
	ds_store_b128 v158, v[34:37]
	ds_store_b128 v158, v[50:53] offset:640
	ds_store_b128 v158, v[38:41] offset:1600
	;; [unrolled: 1-line block ×3, first 2 shown]
	v_fma_f64 v[58:59], v[58:59], v[24:25], v[90:91]
	v_fma_f64 v[60:61], v[60:61], v[24:25], -v[92:93]
	v_fma_f64 v[62:63], v[62:63], v[28:29], v[94:95]
	v_fma_f64 v[64:65], v[64:65], v[28:29], -v[96:97]
	ds_store_b128 v158, v[42:45] offset:3200
	ds_store_b128 v158, v[58:61] offset:3840
	;; [unrolled: 1-line block ×4, first 2 shown]
	s_and_saveexec_b32 s3, vcc_lo
	s_cbranch_execz .LBB0_3
; %bb.2:
	v_add_co_u32 v36, s2, v32, s12
	s_delay_alu instid0(VALU_DEP_1) | instskip(NEXT) | instid1(VALU_DEP_2)
	v_add_co_ci_u32_e64 v37, s2, s13, v33, s2
	v_add_co_u32 v40, s2, v36, s10
	s_delay_alu instid0(VALU_DEP_1) | instskip(SKIP_2) | instid1(VALU_DEP_1)
	v_add_co_ci_u32_e64 v41, s2, s11, v37, s2
	global_load_b128 v[32:35], v[36:37], off
	v_add_co_u32 v48, s2, v40, s10
	v_add_co_ci_u32_e64 v49, s2, s11, v41, s2
	global_load_b128 v[36:39], v[152:153], off offset:1280
	v_add_co_u32 v60, s2, v48, s10
	global_load_b128 v[40:43], v[40:41], off
	v_add_co_ci_u32_e64 v61, s2, s11, v49, s2
	global_load_b128 v[44:47], v[152:153], off offset:2880
	global_load_b128 v[48:51], v[48:49], off
	s_clause 0x1
	global_load_b128 v[52:55], v[155:156], off offset:384
	global_load_b128 v[56:59], v[155:156], off offset:1984
	global_load_b128 v[60:63], v[60:61], off
	s_waitcnt vmcnt(6)
	v_mul_f64 v[64:65], v[34:35], v[38:39]
	v_mul_f64 v[38:39], v[32:33], v[38:39]
	s_waitcnt vmcnt(4)
	v_mul_f64 v[66:67], v[42:43], v[46:47]
	v_mul_f64 v[46:47], v[40:41], v[46:47]
	s_waitcnt vmcnt(2)
	v_mul_f64 v[68:69], v[50:51], v[54:55]
	v_mul_f64 v[54:55], v[48:49], v[54:55]
	s_waitcnt vmcnt(0)
	v_mul_f64 v[70:71], v[62:63], v[58:59]
	v_mul_f64 v[58:59], v[60:61], v[58:59]
	v_fma_f64 v[32:33], v[32:33], v[36:37], v[64:65]
	v_fma_f64 v[34:35], v[34:35], v[36:37], -v[38:39]
	v_fma_f64 v[36:37], v[40:41], v[44:45], v[66:67]
	v_fma_f64 v[38:39], v[42:43], v[44:45], -v[46:47]
	;; [unrolled: 2-line block ×4, first 2 shown]
	ds_store_b128 v158, v[32:35] offset:1280
	ds_store_b128 v158, v[36:39] offset:2880
	;; [unrolled: 1-line block ×4, first 2 shown]
.LBB0_3:
	s_or_b32 exec_lo, exec_lo, s3
	s_waitcnt lgkmcnt(0)
	s_barrier
	buffer_gl0_inv
	ds_load_b128 v[40:43], v158
	ds_load_b128 v[44:47], v158 offset:640
	ds_load_b128 v[52:55], v158 offset:1600
	;; [unrolled: 1-line block ×7, first 2 shown]
                                        ; implicit-def: $vgpr32_vgpr33
                                        ; implicit-def: $vgpr60_vgpr61
                                        ; implicit-def: $vgpr56_vgpr57
                                        ; implicit-def: $vgpr36_vgpr37
	s_and_saveexec_b32 s2, vcc_lo
	s_cbranch_execz .LBB0_5
; %bb.4:
	ds_load_b128 v[32:35], v158 offset:1280
	ds_load_b128 v[36:39], v158 offset:2880
	;; [unrolled: 1-line block ×4, first 2 shown]
.LBB0_5:
	s_or_b32 exec_lo, exec_lo, s2
	s_waitcnt lgkmcnt(3)
	v_add_f64 v[76:77], v[40:41], -v[76:77]
	v_add_f64 v[78:79], v[42:43], -v[78:79]
	s_waitcnt lgkmcnt(2)
	v_add_f64 v[68:69], v[44:45], -v[68:69]
	v_add_f64 v[70:71], v[46:47], -v[70:71]
	s_waitcnt lgkmcnt(0)
	v_add_f64 v[64:65], v[48:49], -v[64:65]
	v_add_f64 v[66:67], v[50:51], -v[66:67]
	v_add_f64 v[72:73], v[52:53], -v[72:73]
	v_add_f64 v[74:75], v[54:55], -v[74:75]
	s_load_b64 s[0:1], s[0:1], 0x8
	v_lshl_add_u32 v163, v157, 6, v159
	s_waitcnt lgkmcnt(0)
	s_barrier
	buffer_gl0_inv
	v_fma_f64 v[80:81], v[40:41], 2.0, -v[76:77]
	v_fma_f64 v[82:83], v[42:43], 2.0, -v[78:79]
	v_fma_f64 v[84:85], v[44:45], 2.0, -v[68:69]
	v_fma_f64 v[86:87], v[46:47], 2.0, -v[70:71]
	v_fma_f64 v[88:89], v[48:49], 2.0, -v[64:65]
	v_fma_f64 v[90:91], v[50:51], 2.0, -v[66:67]
	v_add_f64 v[40:41], v[32:33], -v[56:57]
	v_add_f64 v[42:43], v[34:35], -v[58:59]
	;; [unrolled: 1-line block ×4, first 2 shown]
	v_fma_f64 v[52:53], v[52:53], 2.0, -v[72:73]
	v_fma_f64 v[54:55], v[54:55], 2.0, -v[74:75]
	v_add_f64 v[48:49], v[68:69], -v[66:67]
	v_add_f64 v[50:51], v[70:71], v[64:65]
	v_add_f64 v[44:45], v[76:77], -v[74:75]
	v_add_f64 v[46:47], v[78:79], v[72:73]
	v_add_f64 v[64:65], v[84:85], -v[88:89]
	v_add_f64 v[66:67], v[86:87], -v[90:91]
	v_fma_f64 v[32:33], v[32:33], 2.0, -v[40:41]
	v_fma_f64 v[34:35], v[34:35], 2.0, -v[42:43]
	;; [unrolled: 1-line block ×4, first 2 shown]
	v_add_f64 v[52:53], v[80:81], -v[52:53]
	v_add_f64 v[54:55], v[82:83], -v[54:55]
	;; [unrolled: 1-line block ×3, first 2 shown]
	v_add_f64 v[62:63], v[42:43], v[56:57]
	v_fma_f64 v[36:37], v[76:77], 2.0, -v[44:45]
	v_fma_f64 v[38:39], v[78:79], 2.0, -v[46:47]
	;; [unrolled: 1-line block ×6, first 2 shown]
	v_add_f64 v[56:57], v[32:33], -v[88:89]
	v_add_f64 v[58:59], v[34:35], -v[90:91]
	v_fma_f64 v[72:73], v[80:81], 2.0, -v[52:53]
	v_fma_f64 v[74:75], v[82:83], 2.0, -v[54:55]
	v_lshlrev_b16 v80, 2, v157
	v_add_co_u32 v81, null, 0x50, v157
	s_delay_alu instid0(VALU_DEP_2) | instskip(NEXT) | instid1(VALU_DEP_2)
	v_and_b32_e32 v80, 0xffff, v80
	v_lshl_add_u32 v160, v81, 6, v159
	s_delay_alu instid0(VALU_DEP_2)
	v_lshl_add_u32 v161, v80, 4, v159
	ds_store_b128 v161, v[52:55] offset:32
	ds_store_b128 v161, v[44:47] offset:48
	ds_store_b128 v161, v[72:75]
	ds_store_b128 v161, v[36:39] offset:16
	ds_store_b128 v163, v[76:79] offset:2560
	;; [unrolled: 1-line block ×5, first 2 shown]
	s_and_saveexec_b32 s2, vcc_lo
	s_cbranch_execz .LBB0_7
; %bb.6:
	v_fma_f64 v[36:37], v[42:43], 2.0, -v[62:63]
	v_fma_f64 v[44:45], v[34:35], 2.0, -v[58:59]
	;; [unrolled: 1-line block ×4, first 2 shown]
	ds_store_b128 v160, v[42:45]
	ds_store_b128 v160, v[34:37] offset:16
	ds_store_b128 v160, v[56:59] offset:32
	;; [unrolled: 1-line block ×3, first 2 shown]
.LBB0_7:
	s_or_b32 exec_lo, exec_lo, s2
	v_and_b32_e32 v72, 3, v157
	s_waitcnt lgkmcnt(0)
	s_barrier
	buffer_gl0_inv
	s_mov_b32 s10, 0x134454ff
	v_mad_u64_u32 v[36:37], null, 0x90, v72, s[0:1]
	s_mov_b32 s11, 0x3fee6f0e
	s_mov_b32 s3, 0xbfee6f0e
	;; [unrolled: 1-line block ×6, first 2 shown]
	s_clause 0x8
	global_load_b128 v[52:55], v[36:37], off offset:32
	global_load_b128 v[68:71], v[36:37], off offset:64
	;; [unrolled: 1-line block ×4, first 2 shown]
	global_load_b128 v[32:35], v[36:37], off
	global_load_b128 v[48:51], v[36:37], off offset:16
	global_load_b128 v[44:47], v[36:37], off offset:48
	;; [unrolled: 1-line block ×4, first 2 shown]
	ds_load_b128 v[73:76], v158 offset:1920
	ds_load_b128 v[77:80], v158 offset:3200
	;; [unrolled: 1-line block ×6, first 2 shown]
	s_mov_b32 s12, s14
	s_mov_b32 s16, 0x372fe950
	;; [unrolled: 1-line block ×5, first 2 shown]
	s_waitcnt vmcnt(8) lgkmcnt(5)
	v_mul_f64 v[104:105], v[73:74], v[54:55]
	s_waitcnt vmcnt(7) lgkmcnt(4)
	v_mul_f64 v[106:107], v[79:80], v[70:71]
	v_mul_f64 v[108:109], v[77:78], v[70:71]
	s_waitcnt vmcnt(6) lgkmcnt(3)
	v_mul_f64 v[110:111], v[88:89], v[66:67]
	s_waitcnt vmcnt(5) lgkmcnt(2)
	v_mul_f64 v[112:113], v[92:93], v[86:87]
	v_mul_f64 v[116:117], v[90:91], v[66:67]
	;; [unrolled: 1-line block ×4, first 2 shown]
	s_waitcnt vmcnt(4) lgkmcnt(1)
	v_mul_f64 v[118:119], v[98:99], v[34:35]
	v_mul_f64 v[120:121], v[96:97], v[34:35]
	v_fma_f64 v[104:105], v[75:76], v[52:53], v[104:105]
	v_fma_f64 v[106:107], v[77:78], v[68:69], -v[106:107]
	v_fma_f64 v[108:109], v[79:80], v[68:69], v[108:109]
	v_fma_f64 v[110:111], v[90:91], v[64:65], v[110:111]
	v_fma_f64 v[94:95], v[94:95], v[84:85], v[112:113]
	v_fma_f64 v[112:113], v[88:89], v[64:65], -v[116:117]
	v_fma_f64 v[81:82], v[73:74], v[52:53], -v[81:82]
	;; [unrolled: 1-line block ×3, first 2 shown]
	ds_load_b128 v[73:76], v158 offset:2560
	ds_load_b128 v[77:80], v158 offset:3840
	;; [unrolled: 1-line block ×3, first 2 shown]
	s_waitcnt vmcnt(3) lgkmcnt(3)
	v_mul_f64 v[114:115], v[102:103], v[50:51]
	v_mul_f64 v[116:117], v[100:101], v[50:51]
	v_fma_f64 v[96:97], v[96:97], v[32:33], -v[118:119]
	v_fma_f64 v[98:99], v[98:99], v[32:33], v[120:121]
	s_waitcnt vmcnt(2) lgkmcnt(2)
	v_mul_f64 v[122:123], v[75:76], v[46:47]
	v_mul_f64 v[124:125], v[73:74], v[46:47]
	s_waitcnt vmcnt(1) lgkmcnt(1)
	v_mul_f64 v[126:127], v[79:80], v[42:43]
	s_waitcnt vmcnt(0) lgkmcnt(0)
	v_mul_f64 v[128:129], v[90:91], v[38:39]
	v_mul_f64 v[130:131], v[77:78], v[42:43]
	;; [unrolled: 1-line block ×3, first 2 shown]
	v_add_f64 v[150:151], v[104:105], -v[108:109]
	v_add_f64 v[118:119], v[108:109], v[110:111]
	v_add_f64 v[120:121], v[104:105], v[94:95]
	;; [unrolled: 1-line block ×3, first 2 shown]
	v_add_f64 v[142:143], v[81:82], -v[106:107]
	v_add_f64 v[134:135], v[81:82], v[92:93]
	v_add_f64 v[144:145], v[92:93], -v[112:113]
	v_fma_f64 v[100:101], v[100:101], v[48:49], -v[114:115]
	v_fma_f64 v[102:103], v[102:103], v[48:49], v[116:117]
	v_add_f64 v[146:147], v[106:107], -v[81:82]
	v_add_f64 v[148:149], v[112:113], -v[92:93]
	;; [unrolled: 1-line block ×5, first 2 shown]
	v_fma_f64 v[114:115], v[73:74], v[44:45], -v[122:123]
	v_fma_f64 v[116:117], v[75:76], v[44:45], v[124:125]
	v_fma_f64 v[77:78], v[77:78], v[40:41], -v[126:127]
	v_fma_f64 v[88:89], v[88:89], v[36:37], -v[128:129]
	v_fma_f64 v[79:80], v[79:80], v[40:41], v[130:131]
	v_fma_f64 v[90:91], v[90:91], v[36:37], v[132:133]
	v_add_f64 v[122:123], v[104:105], -v[94:95]
	v_add_f64 v[126:127], v[81:82], -v[92:93]
	;; [unrolled: 1-line block ×4, first 2 shown]
	ds_load_b128 v[73:76], v158
	v_add_f64 v[81:82], v[96:97], v[81:82]
	s_waitcnt lgkmcnt(0)
	s_barrier
	buffer_gl0_inv
	v_fma_f64 v[118:119], v[118:119], -0.5, v[98:99]
	v_fma_f64 v[120:121], v[120:121], -0.5, v[98:99]
	;; [unrolled: 1-line block ×4, first 2 shown]
	v_add_f64 v[96:97], v[98:99], v[104:105]
	v_add_f64 v[178:179], v[73:74], v[100:101]
	;; [unrolled: 1-line block ×7, first 2 shown]
	v_add_f64 v[180:181], v[102:103], -v[90:91]
	v_add_f64 v[186:187], v[100:101], -v[88:89]
	;; [unrolled: 1-line block ×4, first 2 shown]
	v_add_f64 v[81:82], v[81:82], v[106:107]
	v_fma_f64 v[170:171], v[126:127], s[2:3], v[118:119]
	v_fma_f64 v[172:173], v[128:129], s[10:11], v[120:121]
	;; [unrolled: 1-line block ×8, first 2 shown]
	v_add_f64 v[96:97], v[96:97], v[108:109]
	v_fma_f64 v[98:99], v[134:135], -0.5, v[73:74]
	v_fma_f64 v[73:74], v[136:137], -0.5, v[73:74]
	;; [unrolled: 1-line block ×4, first 2 shown]
	v_add_f64 v[134:135], v[142:143], v[144:145]
	v_add_f64 v[136:137], v[146:147], v[148:149]
	;; [unrolled: 1-line block ×4, first 2 shown]
	v_add_f64 v[150:151], v[90:91], -v[79:80]
	v_add_f64 v[164:165], v[79:80], -v[90:91]
	v_add_f64 v[81:82], v[81:82], v[112:113]
	v_fma_f64 v[142:143], v[128:129], s[12:13], v[170:171]
	v_fma_f64 v[144:145], v[126:127], s[12:13], v[172:173]
	;; [unrolled: 1-line block ×8, first 2 shown]
	v_add_f64 v[126:127], v[100:101], -v[114:115]
	v_add_f64 v[100:101], v[114:115], -v[100:101]
	;; [unrolled: 1-line block ×4, first 2 shown]
	v_add_f64 v[114:115], v[178:179], v[114:115]
	v_add_f64 v[116:117], v[184:185], v[116:117]
	v_add_f64 v[128:129], v[88:89], -v[77:78]
	v_add_f64 v[130:131], v[77:78], -v[88:89]
	v_add_f64 v[96:97], v[96:97], v[110:111]
	v_fma_f64 v[106:107], v[180:181], s[10:11], v[98:99]
	v_fma_f64 v[108:109], v[182:183], s[2:3], v[73:74]
	;; [unrolled: 1-line block ×8, first 2 shown]
	v_add_f64 v[81:82], v[81:82], v[92:93]
	v_fma_f64 v[142:143], v[138:139], s[16:17], v[142:143]
	v_fma_f64 v[144:145], v[140:141], s[16:17], v[144:145]
	v_fma_f64 v[148:149], v[134:135], s[16:17], v[148:149]
	v_fma_f64 v[124:125], v[134:135], s[16:17], v[124:125]
	v_fma_f64 v[146:147], v[136:137], s[16:17], v[146:147]
	v_fma_f64 v[122:123], v[136:137], s[16:17], v[122:123]
	v_fma_f64 v[120:121], v[140:141], s[16:17], v[120:121]
	v_fma_f64 v[118:119], v[138:139], s[16:17], v[118:119]
	v_add_f64 v[102:103], v[102:103], v[164:165]
	v_add_f64 v[77:78], v[114:115], v[77:78]
	;; [unrolled: 1-line block ×6, first 2 shown]
	v_fma_f64 v[106:107], v[182:183], s[14:15], v[106:107]
	v_fma_f64 v[108:109], v[180:181], s[14:15], v[108:109]
	;; [unrolled: 1-line block ×8, first 2 shown]
	v_mul_f64 v[114:115], v[142:143], s[14:15]
	v_mul_f64 v[116:117], v[144:145], s[10:11]
	;; [unrolled: 1-line block ×8, first 2 shown]
	v_add_f64 v[77:78], v[77:78], v[88:89]
	v_add_f64 v[79:80], v[79:80], v[90:91]
	;; [unrolled: 1-line block ×3, first 2 shown]
	v_fma_f64 v[106:107], v[126:127], s[16:17], v[106:107]
	v_fma_f64 v[108:109], v[100:101], s[16:17], v[108:109]
	;; [unrolled: 1-line block ×10, first 2 shown]
	v_fma_f64 v[116:117], v[118:119], s[14:15], -v[132:133]
	v_fma_f64 v[118:119], v[142:143], s[18:19], v[134:135]
	v_fma_f64 v[114:115], v[120:121], s[10:11], -v[130:131]
	v_fma_f64 v[120:121], v[144:145], s[16:17], v[136:137]
	v_fma_f64 v[122:123], v[146:147], s[2:3], -v[138:139]
	v_fma_f64 v[124:125], v[148:149], s[12:13], -v[140:141]
	v_add_f64 v[73:74], v[77:78], v[81:82]
	v_add_f64 v[77:78], v[77:78], -v[81:82]
	v_add_f64 v[75:76], v[79:80], v[88:89]
	v_add_f64 v[79:80], v[79:80], -v[88:89]
	v_lshrrev_b32_e32 v81, 2, v157
	s_delay_alu instid0(VALU_DEP_1) | instskip(NEXT) | instid1(VALU_DEP_1)
	v_mul_u32_u24_e32 v81, 40, v81
	v_or_b32_e32 v72, v81, v72
	s_delay_alu instid0(VALU_DEP_1)
	v_lshl_add_u32 v162, v72, 4, v159
	v_add_f64 v[88:89], v[106:107], v[104:105]
	v_add_f64 v[92:93], v[108:109], v[112:113]
	;; [unrolled: 1-line block ×8, first 2 shown]
	v_add_f64 v[104:105], v[106:107], -v[104:105]
	v_add_f64 v[106:107], v[110:111], -v[118:119]
	;; [unrolled: 1-line block ×8, first 2 shown]
	v_mad_u64_u32 v[120:121], null, 0x90, v157, s[0:1]
	ds_store_b128 v162, v[73:76]
	ds_store_b128 v162, v[88:91] offset:64
	ds_store_b128 v162, v[92:95] offset:128
	;; [unrolled: 1-line block ×9, first 2 shown]
	s_waitcnt lgkmcnt(0)
	s_barrier
	buffer_gl0_inv
	s_clause 0x8
	global_load_b128 v[96:99], v[120:121], off offset:608
	global_load_b128 v[104:107], v[120:121], off offset:640
	global_load_b128 v[100:103], v[120:121], off offset:672
	global_load_b128 v[108:111], v[120:121], off offset:704
	global_load_b128 v[72:75], v[120:121], off offset:576
	global_load_b128 v[92:95], v[120:121], off offset:592
	global_load_b128 v[88:91], v[120:121], off offset:624
	global_load_b128 v[80:83], v[120:121], off offset:656
	global_load_b128 v[76:79], v[120:121], off offset:688
	ds_load_b128 v[112:115], v158 offset:1920
	ds_load_b128 v[116:119], v158 offset:3200
	;; [unrolled: 1-line block ×6, first 2 shown]
	s_waitcnt vmcnt(8) lgkmcnt(5)
	v_mul_f64 v[138:139], v[112:113], v[98:99]
	s_waitcnt vmcnt(7) lgkmcnt(4)
	v_mul_f64 v[140:141], v[118:119], v[106:107]
	v_mul_f64 v[142:143], v[116:117], v[106:107]
	s_waitcnt vmcnt(6) lgkmcnt(3)
	v_mul_f64 v[144:145], v[120:121], v[102:103]
	s_waitcnt vmcnt(5) lgkmcnt(2)
	v_mul_f64 v[146:147], v[124:125], v[110:111]
	v_mul_f64 v[150:151], v[122:123], v[102:103]
	;; [unrolled: 1-line block ×4, first 2 shown]
	s_waitcnt vmcnt(4) lgkmcnt(1)
	v_mul_f64 v[164:165], v[130:131], v[74:75]
	v_mul_f64 v[166:167], v[128:129], v[74:75]
	v_fma_f64 v[138:139], v[114:115], v[96:97], v[138:139]
	v_fma_f64 v[140:141], v[116:117], v[104:105], -v[140:141]
	v_fma_f64 v[142:143], v[118:119], v[104:105], v[142:143]
	v_fma_f64 v[144:145], v[122:123], v[100:101], v[144:145]
	v_fma_f64 v[126:127], v[126:127], v[108:109], v[146:147]
	v_fma_f64 v[146:147], v[120:121], v[100:101], -v[150:151]
	v_fma_f64 v[136:137], v[112:113], v[96:97], -v[136:137]
	;; [unrolled: 1-line block ×3, first 2 shown]
	ds_load_b128 v[112:115], v158 offset:2560
	ds_load_b128 v[116:119], v158 offset:3840
	;; [unrolled: 1-line block ×3, first 2 shown]
	s_waitcnt vmcnt(3) lgkmcnt(3)
	v_mul_f64 v[148:149], v[134:135], v[94:95]
	v_mul_f64 v[150:151], v[132:133], v[94:95]
	v_fma_f64 v[128:129], v[128:129], v[72:73], -v[164:165]
	v_fma_f64 v[130:131], v[130:131], v[72:73], v[166:167]
	s_waitcnt vmcnt(2) lgkmcnt(2)
	v_mul_f64 v[168:169], v[114:115], v[90:91]
	v_mul_f64 v[170:171], v[112:113], v[90:91]
	s_waitcnt vmcnt(1) lgkmcnt(1)
	v_mul_f64 v[172:173], v[118:119], v[82:83]
	s_waitcnt vmcnt(0) lgkmcnt(0)
	v_mul_f64 v[174:175], v[122:123], v[78:79]
	v_mul_f64 v[176:177], v[116:117], v[82:83]
	;; [unrolled: 1-line block ×3, first 2 shown]
	v_add_f64 v[196:197], v[138:139], -v[142:143]
	v_add_f64 v[164:165], v[142:143], v[144:145]
	v_add_f64 v[166:167], v[138:139], v[126:127]
	;; [unrolled: 1-line block ×3, first 2 shown]
	v_add_f64 v[188:189], v[136:137], -v[140:141]
	v_add_f64 v[180:181], v[136:137], v[124:125]
	v_add_f64 v[190:191], v[124:125], -v[146:147]
	v_fma_f64 v[132:133], v[132:133], v[92:93], -v[148:149]
	v_fma_f64 v[134:135], v[134:135], v[92:93], v[150:151]
	v_add_f64 v[192:193], v[140:141], -v[136:137]
	v_add_f64 v[194:195], v[146:147], -v[124:125]
	;; [unrolled: 1-line block ×5, first 2 shown]
	v_fma_f64 v[148:149], v[112:113], v[88:89], -v[168:169]
	v_fma_f64 v[150:151], v[114:115], v[88:89], v[170:171]
	v_fma_f64 v[116:117], v[116:117], v[80:81], -v[172:173]
	v_fma_f64 v[120:121], v[120:121], v[76:77], -v[174:175]
	v_fma_f64 v[118:119], v[118:119], v[80:81], v[176:177]
	v_fma_f64 v[122:123], v[122:123], v[76:77], v[178:179]
	v_add_f64 v[168:169], v[138:139], -v[126:127]
	v_add_f64 v[172:173], v[136:137], -v[124:125]
	;; [unrolled: 1-line block ×4, first 2 shown]
	ds_load_b128 v[112:115], v158
	v_fma_f64 v[164:165], v[164:165], -0.5, v[130:131]
	v_fma_f64 v[166:167], v[166:167], -0.5, v[130:131]
	;; [unrolled: 1-line block ×3, first 2 shown]
	v_add_f64 v[130:131], v[130:131], v[138:139]
	v_fma_f64 v[176:177], v[180:181], -0.5, v[128:129]
	v_add_f64 v[128:129], v[128:129], v[136:137]
	s_waitcnt lgkmcnt(0)
	v_add_f64 v[212:213], v[112:113], v[132:133]
	v_add_f64 v[218:219], v[114:115], v[134:135]
	;; [unrolled: 1-line block ×6, first 2 shown]
	v_add_f64 v[214:215], v[134:135], -v[122:123]
	v_add_f64 v[220:221], v[132:133], -v[120:121]
	;; [unrolled: 1-line block ×4, first 2 shown]
	v_fma_f64 v[204:205], v[172:173], s[2:3], v[164:165]
	v_fma_f64 v[206:207], v[174:175], s[10:11], v[166:167]
	;; [unrolled: 1-line block ×8, first 2 shown]
	v_add_f64 v[128:129], v[128:129], v[140:141]
	v_add_f64 v[130:131], v[130:131], v[142:143]
	v_fma_f64 v[136:137], v[180:181], -0.5, v[112:113]
	v_fma_f64 v[112:113], v[182:183], -0.5, v[112:113]
	;; [unrolled: 1-line block ×4, first 2 shown]
	v_add_f64 v[180:181], v[188:189], v[190:191]
	v_add_f64 v[182:183], v[192:193], v[194:195]
	;; [unrolled: 1-line block ×4, first 2 shown]
	v_add_f64 v[196:197], v[122:123], -v[118:119]
	v_add_f64 v[198:199], v[118:119], -v[122:123]
	v_fma_f64 v[188:189], v[174:175], s[12:13], v[204:205]
	v_fma_f64 v[190:191], v[172:173], s[12:13], v[206:207]
	;; [unrolled: 1-line block ×8, first 2 shown]
	v_add_f64 v[172:173], v[132:133], -v[148:149]
	v_add_f64 v[132:133], v[148:149], -v[132:133]
	;; [unrolled: 1-line block ×4, first 2 shown]
	v_add_f64 v[148:149], v[212:213], v[148:149]
	v_add_f64 v[150:151], v[218:219], v[150:151]
	v_add_f64 v[174:175], v[120:121], -v[116:117]
	v_add_f64 v[176:177], v[116:117], -v[120:121]
	v_add_f64 v[128:129], v[128:129], v[146:147]
	v_add_f64 v[130:131], v[130:131], v[144:145]
	v_fma_f64 v[140:141], v[214:215], s[10:11], v[136:137]
	v_fma_f64 v[142:143], v[216:217], s[2:3], v[112:113]
	;; [unrolled: 1-line block ×16, first 2 shown]
	v_add_f64 v[134:135], v[134:135], v[198:199]
	v_add_f64 v[116:117], v[148:149], v[116:117]
	;; [unrolled: 1-line block ×6, first 2 shown]
	v_fma_f64 v[140:141], v[216:217], s[14:15], v[140:141]
	v_fma_f64 v[142:143], v[214:215], s[14:15], v[142:143]
	;; [unrolled: 1-line block ×8, first 2 shown]
	v_mul_f64 v[148:149], v[188:189], s[14:15]
	v_mul_f64 v[150:151], v[190:191], s[10:11]
	;; [unrolled: 1-line block ×8, first 2 shown]
	v_add_f64 v[116:117], v[116:117], v[120:121]
	v_add_f64 v[118:119], v[118:119], v[122:123]
	;; [unrolled: 1-line block ×4, first 2 shown]
	v_fma_f64 v[196:197], v[172:173], s[16:17], v[140:141]
	v_fma_f64 v[198:199], v[132:133], s[16:17], v[142:143]
	;; [unrolled: 1-line block ×11, first 2 shown]
	v_fma_f64 v[150:151], v[166:167], s[10:11], -v[176:177]
	v_fma_f64 v[170:171], v[190:191], s[16:17], v[182:183]
	v_fma_f64 v[176:177], v[192:193], s[2:3], -v[184:185]
	v_fma_f64 v[166:167], v[164:165], s[14:15], -v[178:179]
	;; [unrolled: 1-line block ×3, first 2 shown]
	v_add_f64 v[122:123], v[116:117], v[120:121]
	v_add_f64 v[124:125], v[118:119], v[128:129]
	v_add_f64 v[126:127], v[116:117], -v[120:121]
	v_add_f64 v[128:129], v[118:119], -v[128:129]
	v_add_co_u32 v120, s0, 0x1900, v152
	s_delay_alu instid0(VALU_DEP_1)
	v_add_co_ci_u32_e64 v121, s0, 0, v153, s0
	v_add_f64 v[130:131], v[196:197], v[146:147]
	v_add_f64 v[134:135], v[198:199], v[148:149]
	v_add_f64 v[146:147], v[196:197], -v[146:147]
	v_add_f64 v[132:133], v[200:201], v[168:169]
	v_add_f64 v[138:139], v[112:113], v[150:151]
	;; [unrolled: 1-line block ×6, first 2 shown]
	v_add_f64 v[164:165], v[198:199], -v[148:149]
	v_add_f64 v[148:149], v[200:201], -v[168:169]
	v_add_f64 v[116:117], v[172:173], -v[166:167]
	v_add_f64 v[166:167], v[202:203], -v[170:171]
	v_add_f64 v[112:113], v[112:113], -v[150:151]
	v_add_f64 v[114:115], v[114:115], -v[176:177]
	v_add_f64 v[118:119], v[174:175], -v[178:179]
	v_add_co_u32 v150, s0, 0x2000, v152
	s_delay_alu instid0(VALU_DEP_1)
	v_add_co_ci_u32_e64 v151, s0, 0, v153, s0
	ds_store_b128 v158, v[122:125]
	ds_store_b128 v158, v[130:133] offset:640
	ds_store_b128 v158, v[134:137] offset:1280
	ds_store_b128 v158, v[138:141] offset:1920
	ds_store_b128 v158, v[142:145] offset:2560
	ds_store_b128 v158, v[126:129] offset:3200
	ds_store_b128 v158, v[146:149] offset:3840
	ds_store_b128 v158, v[164:167] offset:4480
	ds_store_b128 v158, v[112:115] offset:5120
	ds_store_b128 v158, v[116:119] offset:5760
	s_waitcnt lgkmcnt(0)
	s_barrier
	buffer_gl0_inv
	s_clause 0x7
	global_load_b128 v[122:125], v[155:156], off offset:2304
	global_load_b128 v[126:129], v[120:121], off offset:1600
	;; [unrolled: 1-line block ×8, first 2 shown]
	ds_load_b128 v[168:171], v158
	ds_load_b128 v[172:175], v158 offset:1600
	ds_load_b128 v[176:179], v158 offset:3200
	;; [unrolled: 1-line block ×7, first 2 shown]
	s_waitcnt vmcnt(6) lgkmcnt(6)
	v_mul_f64 v[200:201], v[174:175], v[128:129]
	v_mul_f64 v[128:129], v[172:173], v[128:129]
	s_waitcnt vmcnt(5) lgkmcnt(5)
	v_mul_f64 v[202:203], v[178:179], v[132:133]
	v_mul_f64 v[132:133], v[176:177], v[132:133]
	;; [unrolled: 3-line block ×3, first 2 shown]
	v_mul_f64 v[124:125], v[168:169], v[124:125]
	v_mul_f64 v[136:137], v[180:181], v[136:137]
	s_waitcnt vmcnt(3) lgkmcnt(3)
	v_mul_f64 v[206:207], v[186:187], v[140:141]
	v_mul_f64 v[140:141], v[184:185], v[140:141]
	s_waitcnt vmcnt(2) lgkmcnt(2)
	;; [unrolled: 3-line block ×4, first 2 shown]
	v_mul_f64 v[214:215], v[198:199], v[166:167]
	v_mul_f64 v[216:217], v[196:197], v[166:167]
	v_fma_f64 v[148:149], v[168:169], v[122:123], -v[150:151]
	v_fma_f64 v[150:151], v[170:171], v[122:123], v[124:125]
	v_fma_f64 v[122:123], v[172:173], v[126:127], -v[200:201]
	v_fma_f64 v[124:125], v[174:175], v[126:127], v[128:129]
	;; [unrolled: 2-line block ×8, first 2 shown]
	ds_store_b128 v158, v[148:151]
	ds_store_b128 v158, v[134:137] offset:640
	ds_store_b128 v158, v[122:125] offset:1600
	;; [unrolled: 1-line block ×7, first 2 shown]
	s_and_saveexec_b32 s1, vcc_lo
	s_cbranch_execz .LBB0_9
; %bb.8:
	v_add_co_u32 v134, s0, 0x1000, v120
	s_delay_alu instid0(VALU_DEP_1)
	v_add_co_ci_u32_e64 v135, s0, 0, v121, s0
	s_clause 0x3
	global_load_b128 v[122:125], v[120:121], off offset:1280
	global_load_b128 v[126:129], v[120:121], off offset:2880
	;; [unrolled: 1-line block ×4, first 2 shown]
	ds_load_b128 v[138:141], v158 offset:1280
	ds_load_b128 v[142:145], v158 offset:2880
	;; [unrolled: 1-line block ×4, first 2 shown]
	s_waitcnt vmcnt(3) lgkmcnt(3)
	v_mul_f64 v[120:121], v[140:141], v[124:125]
	v_mul_f64 v[124:125], v[138:139], v[124:125]
	s_waitcnt vmcnt(2) lgkmcnt(2)
	v_mul_f64 v[150:151], v[144:145], v[128:129]
	v_mul_f64 v[128:129], v[142:143], v[128:129]
	;; [unrolled: 3-line block ×4, first 2 shown]
	v_fma_f64 v[120:121], v[138:139], v[122:123], -v[120:121]
	v_fma_f64 v[122:123], v[140:141], v[122:123], v[124:125]
	v_fma_f64 v[124:125], v[142:143], v[126:127], -v[150:151]
	v_fma_f64 v[126:127], v[144:145], v[126:127], v[128:129]
	;; [unrolled: 2-line block ×4, first 2 shown]
	ds_store_b128 v158, v[120:123] offset:1280
	ds_store_b128 v158, v[124:127] offset:2880
	;; [unrolled: 1-line block ×4, first 2 shown]
.LBB0_9:
	s_or_b32 exec_lo, exec_lo, s1
	s_waitcnt lgkmcnt(0)
	s_barrier
	buffer_gl0_inv
	ds_load_b128 v[120:123], v158
	ds_load_b128 v[124:127], v158 offset:640
	ds_load_b128 v[132:135], v158 offset:1600
	;; [unrolled: 1-line block ×7, first 2 shown]
	v_add_nc_u32_e32 v163, 0xa00, v163
	s_and_saveexec_b32 s0, vcc_lo
	s_cbranch_execz .LBB0_11
; %bb.10:
	v_lshl_add_u32 v60, v157, 4, v159
	ds_load_b128 v[112:115], v158 offset:1280
	ds_load_b128 v[56:59], v158 offset:4480
	;; [unrolled: 1-line block ×4, first 2 shown]
.LBB0_11:
	s_or_b32 exec_lo, exec_lo, s0
	s_waitcnt lgkmcnt(3)
	v_add_f64 v[148:149], v[120:121], -v[148:149]
	v_add_f64 v[150:151], v[122:123], -v[150:151]
	s_waitcnt lgkmcnt(1)
	v_add_f64 v[144:145], v[132:133], -v[144:145]
	v_add_f64 v[146:147], v[134:135], -v[146:147]
	;; [unrolled: 1-line block ×4, first 2 shown]
	s_waitcnt lgkmcnt(0)
	v_add_f64 v[136:137], v[128:129], -v[136:137]
	v_add_f64 v[138:139], v[130:131], -v[138:139]
	s_barrier
	buffer_gl0_inv
	v_fma_f64 v[164:165], v[120:121], 2.0, -v[148:149]
	v_fma_f64 v[166:167], v[122:123], 2.0, -v[150:151]
	;; [unrolled: 1-line block ×8, first 2 shown]
	v_add_f64 v[120:121], v[148:149], v[146:147]
	v_add_f64 v[122:123], v[150:151], -v[144:145]
	v_add_f64 v[124:125], v[140:141], v[138:139]
	v_add_f64 v[128:129], v[164:165], -v[132:133]
	v_add_f64 v[130:131], v[166:167], -v[134:135]
	;; [unrolled: 1-line block ×5, first 2 shown]
	v_fma_f64 v[136:137], v[148:149], 2.0, -v[120:121]
	v_fma_f64 v[138:139], v[150:151], 2.0, -v[122:123]
	;; [unrolled: 1-line block ×8, first 2 shown]
	ds_store_b128 v161, v[128:131] offset:32
	ds_store_b128 v161, v[120:123] offset:48
	ds_store_b128 v161, v[144:147]
	ds_store_b128 v161, v[136:139] offset:16
	ds_store_b128 v163, v[148:151]
	ds_store_b128 v163, v[140:143] offset:16
	ds_store_b128 v163, v[132:135] offset:32
	ds_store_b128 v163, v[124:127] offset:48
	s_and_saveexec_b32 s0, vcc_lo
	s_cbranch_execz .LBB0_13
; %bb.12:
	v_add_f64 v[120:121], v[114:115], -v[58:59]
	v_add_f64 v[122:123], v[118:119], -v[62:63]
	;; [unrolled: 1-line block ×4, first 2 shown]
	s_delay_alu instid0(VALU_DEP_4) | instskip(NEXT) | instid1(VALU_DEP_4)
	v_fma_f64 v[126:127], v[114:115], 2.0, -v[120:121]
	v_fma_f64 v[60:61], v[118:119], 2.0, -v[122:123]
	s_delay_alu instid0(VALU_DEP_4) | instskip(NEXT) | instid1(VALU_DEP_4)
	v_fma_f64 v[112:113], v[112:113], 2.0, -v[124:125]
	v_fma_f64 v[114:115], v[116:117], 2.0, -v[56:57]
	v_add_f64 v[58:59], v[120:121], -v[56:57]
	v_add_f64 v[56:57], v[124:125], v[122:123]
	v_add_f64 v[62:63], v[126:127], -v[60:61]
	s_delay_alu instid0(VALU_DEP_4) | instskip(NEXT) | instid1(VALU_DEP_4)
	v_add_f64 v[60:61], v[112:113], -v[114:115]
	v_fma_f64 v[114:115], v[120:121], 2.0, -v[58:59]
	s_delay_alu instid0(VALU_DEP_3) | instskip(NEXT) | instid1(VALU_DEP_3)
	v_fma_f64 v[118:119], v[126:127], 2.0, -v[62:63]
	v_fma_f64 v[116:117], v[112:113], 2.0, -v[60:61]
	;; [unrolled: 1-line block ×3, first 2 shown]
	ds_store_b128 v160, v[116:119]
	ds_store_b128 v160, v[112:115] offset:16
	ds_store_b128 v160, v[60:63] offset:32
	ds_store_b128 v160, v[56:59] offset:48
.LBB0_13:
	s_or_b32 exec_lo, exec_lo, s0
	s_waitcnt lgkmcnt(0)
	s_barrier
	buffer_gl0_inv
	ds_load_b128 v[56:59], v158 offset:1920
	ds_load_b128 v[60:63], v158 offset:3200
	;; [unrolled: 1-line block ×6, first 2 shown]
	s_mov_b32 s10, 0x134454ff
	s_mov_b32 s11, 0xbfee6f0e
	;; [unrolled: 1-line block ×15, first 2 shown]
	s_waitcnt lgkmcnt(5)
	v_mul_f64 v[128:129], v[54:55], v[56:57]
	s_waitcnt lgkmcnt(4)
	v_mul_f64 v[130:131], v[70:71], v[60:61]
	;; [unrolled: 2-line block ×5, first 2 shown]
	v_mul_f64 v[54:55], v[54:55], v[58:59]
	v_mul_f64 v[70:71], v[70:71], v[62:63]
	;; [unrolled: 1-line block ×4, first 2 shown]
	s_waitcnt lgkmcnt(0)
	v_mul_f64 v[142:143], v[50:51], v[126:127]
	v_mul_f64 v[50:51], v[50:51], v[124:125]
	v_mul_f64 v[34:35], v[34:35], v[122:123]
	s_mov_b32 s20, s16
	v_fma_f64 v[58:59], v[52:53], v[58:59], -v[128:129]
	v_fma_f64 v[62:63], v[68:69], v[62:63], -v[130:131]
	;; [unrolled: 1-line block ×4, first 2 shown]
	ds_load_b128 v[128:131], v158 offset:2560
	ds_load_b128 v[132:135], v158 offset:3840
	;; [unrolled: 1-line block ×3, first 2 shown]
	v_fma_f64 v[52:53], v[52:53], v[56:57], v[54:55]
	v_fma_f64 v[54:55], v[68:69], v[60:61], v[70:71]
	;; [unrolled: 1-line block ×4, first 2 shown]
	v_fma_f64 v[64:65], v[32:33], v[122:123], -v[140:141]
	v_fma_f64 v[70:71], v[48:49], v[124:125], v[142:143]
	v_fma_f64 v[48:49], v[48:49], v[126:127], -v[50:51]
	s_waitcnt lgkmcnt(2)
	v_mul_f64 v[144:145], v[46:47], v[130:131]
	v_mul_f64 v[46:47], v[46:47], v[128:129]
	s_waitcnt lgkmcnt(1)
	v_mul_f64 v[146:147], v[42:43], v[134:135]
	s_waitcnt lgkmcnt(0)
	v_mul_f64 v[148:149], v[38:39], v[138:139]
	v_mul_f64 v[42:43], v[42:43], v[132:133]
	;; [unrolled: 1-line block ×3, first 2 shown]
	v_add_f64 v[66:67], v[62:63], v[114:115]
	v_add_f64 v[68:69], v[58:59], v[118:119]
	v_add_f64 v[159:160], v[52:53], -v[54:55]
	v_add_f64 v[116:117], v[54:55], -v[56:57]
	v_add_f64 v[86:87], v[52:53], v[60:61]
	v_add_f64 v[112:113], v[52:53], -v[60:61]
	v_add_f64 v[163:164], v[60:61], -v[56:57]
	;; [unrolled: 1-line block ×3, first 2 shown]
	v_fma_f64 v[50:51], v[44:45], v[128:129], v[144:145]
	v_fma_f64 v[44:45], v[44:45], v[130:131], -v[46:47]
	v_fma_f64 v[46:47], v[40:41], v[132:133], v[146:147]
	v_fma_f64 v[84:85], v[36:37], v[136:137], v[148:149]
	v_fma_f64 v[40:41], v[40:41], v[134:135], -v[42:43]
	v_fma_f64 v[36:37], v[36:37], v[138:139], -v[38:39]
	v_fma_f64 v[38:39], v[32:33], v[120:121], v[34:35]
	v_add_f64 v[42:43], v[54:55], v[56:57]
	v_add_f64 v[128:129], v[58:59], -v[118:119]
	v_add_f64 v[130:131], v[58:59], -v[62:63]
	;; [unrolled: 1-line block ×6, first 2 shown]
	ds_load_b128 v[32:35], v158
	v_add_f64 v[58:59], v[64:65], v[58:59]
	s_waitcnt lgkmcnt(0)
	s_barrier
	v_fma_f64 v[66:67], v[66:67], -0.5, v[64:65]
	v_fma_f64 v[68:69], v[68:69], -0.5, v[64:65]
	buffer_gl0_inv
	v_add_f64 v[144:145], v[32:33], v[70:71]
	v_add_f64 v[150:151], v[34:35], v[48:49]
	v_add_f64 v[167:168], v[48:49], -v[44:45]
	v_add_f64 v[120:121], v[50:51], v[46:47]
	v_add_f64 v[122:123], v[70:71], v[84:85]
	v_add_f64 v[124:125], v[44:45], v[40:41]
	v_add_f64 v[126:127], v[48:49], v[36:37]
	v_fma_f64 v[86:87], v[86:87], -0.5, v[38:39]
	v_fma_f64 v[42:43], v[42:43], -0.5, v[38:39]
	v_add_f64 v[38:39], v[38:39], v[52:53]
	v_add_f64 v[146:147], v[48:49], -v[36:37]
	v_add_f64 v[52:53], v[54:55], -v[52:53]
	;; [unrolled: 1-line block ×6, first 2 shown]
	v_add_f64 v[58:59], v[58:59], v[62:63]
	v_fma_f64 v[140:141], v[112:113], s[0:1], v[66:67]
	v_fma_f64 v[142:143], v[116:117], s[10:11], v[68:69]
	v_fma_f64 v[68:69], v[116:117], s[0:1], v[68:69]
	v_fma_f64 v[66:67], v[112:113], s[10:11], v[66:67]
	v_add_f64 v[44:45], v[150:151], v[44:45]
	v_fma_f64 v[64:65], v[120:121], -0.5, v[32:33]
	v_add_f64 v[120:121], v[70:71], -v[84:85]
	v_fma_f64 v[32:33], v[122:123], -0.5, v[32:33]
	v_add_f64 v[122:123], v[50:51], -v[46:47]
	v_fma_f64 v[124:125], v[124:125], -0.5, v[34:35]
	v_fma_f64 v[34:35], v[126:127], -0.5, v[34:35]
	v_add_f64 v[126:127], v[130:131], v[132:133]
	v_add_f64 v[130:131], v[134:135], v[136:137]
	v_fma_f64 v[132:133], v[128:129], s[10:11], v[42:43]
	v_fma_f64 v[42:43], v[128:129], s[0:1], v[42:43]
	v_fma_f64 v[134:135], v[138:139], s[0:1], v[86:87]
	v_fma_f64 v[86:87], v[138:139], s[10:11], v[86:87]
	v_add_f64 v[38:39], v[38:39], v[54:55]
	v_add_f64 v[54:55], v[159:160], v[163:164]
	;; [unrolled: 1-line block ×4, first 2 shown]
	v_fma_f64 v[136:137], v[116:117], s[2:3], v[140:141]
	v_fma_f64 v[140:141], v[112:113], s[2:3], v[142:143]
	;; [unrolled: 1-line block ×4, first 2 shown]
	v_add_f64 v[112:113], v[70:71], -v[50:51]
	v_add_f64 v[70:71], v[50:51], -v[70:71]
	v_add_f64 v[50:51], v[144:145], v[50:51]
	v_add_f64 v[116:117], v[84:85], -v[46:47]
	v_add_f64 v[142:143], v[46:47], -v[84:85]
	v_add_f64 v[40:41], v[44:45], v[40:41]
	v_add_f64 v[44:45], v[58:59], v[114:115]
	v_fma_f64 v[62:63], v[146:147], s[10:11], v[64:65]
	v_fma_f64 v[64:65], v[146:147], s[0:1], v[64:65]
	;; [unrolled: 1-line block ×12, first 2 shown]
	v_add_f64 v[38:39], v[38:39], v[56:57]
	v_fma_f64 v[128:129], v[126:127], s[12:13], v[136:137]
	v_fma_f64 v[136:137], v[130:131], s[12:13], v[140:141]
	;; [unrolled: 1-line block ×4, first 2 shown]
	v_add_f64 v[46:47], v[50:51], v[46:47]
	v_add_f64 v[112:113], v[112:113], v[116:117]
	;; [unrolled: 1-line block ×5, first 2 shown]
	v_fma_f64 v[50:51], v[148:149], s[14:15], v[62:63]
	v_fma_f64 v[56:57], v[148:149], s[2:3], v[64:65]
	;; [unrolled: 1-line block ×12, first 2 shown]
	v_add_f64 v[36:37], v[38:39], v[60:61]
	v_add_f64 v[38:39], v[44:45], v[118:119]
	v_mul_f64 v[86:87], v[128:129], s[14:15]
	v_mul_f64 v[128:129], v[128:129], s[16:17]
	;; [unrolled: 1-line block ×8, first 2 shown]
	v_add_f64 v[46:47], v[46:47], v[84:85]
	v_fma_f64 v[60:61], v[112:113], s[12:13], v[50:51]
	v_fma_f64 v[84:85], v[112:113], s[12:13], v[56:57]
	;; [unrolled: 1-line block ×8, first 2 shown]
	v_add_f64 v[34:35], v[40:41], v[38:39]
	v_add_f64 v[38:39], v[40:41], -v[38:39]
	v_fma_f64 v[56:57], v[120:121], s[16:17], v[86:87]
	v_fma_f64 v[120:121], v[120:121], s[2:3], v[128:129]
	;; [unrolled: 1-line block ×8, first 2 shown]
	v_add_f64 v[32:33], v[46:47], v[36:37]
	v_add_f64 v[36:37], v[46:47], -v[36:37]
	v_add_f64 v[40:41], v[60:61], v[56:57]
	v_add_f64 v[42:43], v[62:63], v[120:121]
	;; [unrolled: 1-line block ×8, first 2 shown]
	v_add_f64 v[56:57], v[60:61], -v[56:57]
	v_add_f64 v[60:61], v[58:59], -v[64:65]
	;; [unrolled: 1-line block ×8, first 2 shown]
	ds_store_b128 v162, v[32:35]
	ds_store_b128 v162, v[40:43] offset:64
	ds_store_b128 v162, v[44:47] offset:128
	;; [unrolled: 1-line block ×9, first 2 shown]
	s_waitcnt lgkmcnt(0)
	s_barrier
	buffer_gl0_inv
	ds_load_b128 v[32:35], v158 offset:1920
	ds_load_b128 v[36:39], v158 offset:3200
	;; [unrolled: 1-line block ×6, first 2 shown]
	s_waitcnt lgkmcnt(5)
	v_mul_f64 v[56:57], v[98:99], v[32:33]
	s_waitcnt lgkmcnt(4)
	v_mul_f64 v[58:59], v[106:107], v[36:37]
	;; [unrolled: 2-line block ×5, first 2 shown]
	v_mul_f64 v[70:71], v[98:99], v[34:35]
	v_mul_f64 v[84:85], v[106:107], v[38:39]
	;; [unrolled: 1-line block ×5, first 2 shown]
	v_fma_f64 v[102:103], v[96:97], v[34:35], -v[56:57]
	v_fma_f64 v[38:39], v[104:105], v[38:39], -v[58:59]
	;; [unrolled: 1-line block ×4, first 2 shown]
	ds_load_b128 v[56:59], v158 offset:2560
	ds_load_b128 v[60:63], v158 offset:3840
	;; [unrolled: 1-line block ×3, first 2 shown]
	s_waitcnt lgkmcnt(3)
	v_mul_f64 v[34:35], v[94:95], v[54:55]
	v_mul_f64 v[94:95], v[94:95], v[52:53]
	v_fma_f64 v[70:71], v[96:97], v[32:33], v[70:71]
	v_fma_f64 v[36:37], v[104:105], v[36:37], v[84:85]
	;; [unrolled: 1-line block ×4, first 2 shown]
	v_fma_f64 v[50:51], v[72:73], v[50:51], -v[68:69]
	v_fma_f64 v[48:49], v[72:73], v[48:49], v[74:75]
	s_waitcnt lgkmcnt(2)
	v_mul_f64 v[106:107], v[90:91], v[58:59]
	v_mul_f64 v[90:91], v[90:91], v[56:57]
	s_waitcnt lgkmcnt(1)
	v_mul_f64 v[110:111], v[82:83], v[62:63]
	s_waitcnt lgkmcnt(0)
	v_mul_f64 v[112:113], v[78:79], v[66:67]
	v_mul_f64 v[82:83], v[82:83], v[60:61]
	;; [unrolled: 1-line block ×3, first 2 shown]
	v_add_f64 v[96:97], v[38:39], -v[102:103]
	v_add_f64 v[32:33], v[38:39], v[42:43]
	v_add_f64 v[68:69], v[102:103], v[46:47]
	v_add_f64 v[98:99], v[42:43], -v[46:47]
	v_fma_f64 v[52:53], v[92:93], v[52:53], v[34:35]
	v_fma_f64 v[54:55], v[92:93], v[54:55], -v[94:95]
	v_add_f64 v[92:93], v[102:103], -v[38:39]
	v_add_f64 v[94:95], v[46:47], -v[42:43]
	v_add_f64 v[72:73], v[36:37], v[40:41]
	v_add_f64 v[74:75], v[70:71], v[44:45]
	v_add_f64 v[100:101], v[38:39], -v[42:43]
	v_add_f64 v[116:117], v[70:71], -v[36:37]
	;; [unrolled: 1-line block ×4, first 2 shown]
	v_fma_f64 v[56:57], v[88:89], v[56:57], v[106:107]
	v_fma_f64 v[58:59], v[88:89], v[58:59], -v[90:91]
	v_fma_f64 v[60:61], v[80:81], v[60:61], v[110:111]
	v_fma_f64 v[64:65], v[76:77], v[64:65], v[112:113]
	v_fma_f64 v[62:63], v[80:81], v[62:63], -v[82:83]
	v_fma_f64 v[66:67], v[76:77], v[66:67], -v[78:79]
	v_add_f64 v[76:77], v[70:71], -v[44:45]
	v_add_f64 v[78:79], v[36:37], -v[40:41]
	;; [unrolled: 1-line block ×3, first 2 shown]
	v_fma_f64 v[80:81], v[32:33], -0.5, v[50:51]
	v_fma_f64 v[68:69], v[68:69], -0.5, v[50:51]
	ds_load_b128 v[32:35], v158
	v_add_f64 v[50:51], v[50:51], v[102:103]
	v_fma_f64 v[72:73], v[72:73], -0.5, v[48:49]
	v_fma_f64 v[74:75], v[74:75], -0.5, v[48:49]
	v_add_f64 v[48:49], v[48:49], v[70:71]
	v_add_f64 v[70:71], v[36:37], -v[70:71]
	v_add_f64 v[122:123], v[54:55], -v[58:59]
	v_add_f64 v[82:83], v[56:57], v[60:61]
	v_add_f64 v[84:85], v[52:53], v[64:65]
	;; [unrolled: 1-line block ×4, first 2 shown]
	s_waitcnt lgkmcnt(0)
	v_add_f64 v[108:109], v[32:33], v[52:53]
	v_add_f64 v[114:115], v[34:35], v[54:55]
	v_add_f64 v[110:111], v[54:55], -v[66:67]
	v_add_f64 v[102:103], v[52:53], -v[64:65]
	;; [unrolled: 1-line block ×6, first 2 shown]
	v_fma_f64 v[104:105], v[76:77], s[0:1], v[80:81]
	v_fma_f64 v[106:107], v[78:79], s[10:11], v[68:69]
	;; [unrolled: 1-line block ×4, first 2 shown]
	v_add_f64 v[38:39], v[50:51], v[38:39]
	v_add_f64 v[36:37], v[48:49], v[36:37]
	;; [unrolled: 1-line block ×4, first 2 shown]
	v_fma_f64 v[82:83], v[82:83], -0.5, v[32:33]
	v_fma_f64 v[32:33], v[84:85], -0.5, v[32:33]
	;; [unrolled: 1-line block ×4, first 2 shown]
	v_add_f64 v[88:89], v[92:93], v[94:95]
	v_add_f64 v[92:93], v[96:97], v[98:99]
	v_fma_f64 v[94:95], v[90:91], s[10:11], v[72:73]
	v_fma_f64 v[72:73], v[90:91], s[0:1], v[72:73]
	;; [unrolled: 1-line block ×4, first 2 shown]
	v_add_f64 v[84:85], v[56:57], -v[60:61]
	v_add_f64 v[58:59], v[114:115], v[58:59]
	v_add_f64 v[54:55], v[54:55], v[126:127]
	v_fma_f64 v[98:99], v[78:79], s[2:3], v[104:105]
	v_fma_f64 v[104:105], v[76:77], s[2:3], v[106:107]
	;; [unrolled: 1-line block ×4, first 2 shown]
	v_add_f64 v[78:79], v[52:53], -v[56:57]
	v_add_f64 v[52:53], v[56:57], -v[52:53]
	v_add_f64 v[56:57], v[108:109], v[56:57]
	v_add_f64 v[80:81], v[64:65], -v[60:61]
	v_add_f64 v[106:107], v[60:61], -v[64:65]
	v_add_f64 v[36:37], v[36:37], v[40:41]
	v_add_f64 v[38:39], v[38:39], v[42:43]
	v_fma_f64 v[50:51], v[110:111], s[10:11], v[82:83]
	v_fma_f64 v[82:83], v[110:111], s[0:1], v[82:83]
	;; [unrolled: 1-line block ×12, first 2 shown]
	v_add_f64 v[58:59], v[58:59], v[62:63]
	v_fma_f64 v[90:91], v[88:89], s[12:13], v[98:99]
	v_fma_f64 v[98:99], v[92:93], s[12:13], v[104:105]
	;; [unrolled: 1-line block ×4, first 2 shown]
	v_add_f64 v[56:57], v[56:57], v[60:61]
	v_add_f64 v[78:79], v[78:79], v[80:81]
	;; [unrolled: 1-line block ×6, first 2 shown]
	v_fma_f64 v[40:41], v[112:113], s[14:15], v[50:51]
	v_fma_f64 v[42:43], v[112:113], s[2:3], v[82:83]
	;; [unrolled: 1-line block ×12, first 2 shown]
	v_add_f64 v[58:59], v[58:59], v[66:67]
	v_mul_f64 v[74:75], v[90:91], s[14:15]
	v_mul_f64 v[90:91], v[90:91], s[16:17]
	v_mul_f64 v[86:87], v[98:99], s[10:11]
	v_mul_f64 v[94:95], v[98:99], s[12:13]
	v_mul_f64 v[88:89], v[68:69], s[10:11]
	v_mul_f64 v[68:69], v[68:69], s[18:19]
	v_mul_f64 v[92:93], v[76:77], s[14:15]
	v_mul_f64 v[76:77], v[76:77], s[20:21]
	v_add_f64 v[56:57], v[56:57], v[64:65]
	s_mul_hi_u32 s11, s4, 0xfffffefc
	s_mul_i32 s10, s4, 0xfffffefc
	v_fma_f64 v[64:65], v[78:79], s[12:13], v[40:41]
	v_fma_f64 v[66:67], v[78:79], s[12:13], v[42:43]
	;; [unrolled: 1-line block ×8, first 2 shown]
	v_add_f64 v[34:35], v[58:59], v[38:39]
	v_add_f64 v[38:39], v[58:59], -v[38:39]
	v_fma_f64 v[60:61], v[84:85], s[16:17], v[74:75]
	v_fma_f64 v[84:85], v[84:85], s[2:3], v[90:91]
	;; [unrolled: 1-line block ×8, first 2 shown]
	v_add_f64 v[32:33], v[56:57], v[36:37]
	v_add_f64 v[36:37], v[56:57], -v[36:37]
	s_mul_i32 s1, s5, 0x64
	s_mov_b32 s2, 0x47ae147b
	s_mov_b32 s3, 0x3f647ae1
	v_add_f64 v[40:41], v[64:65], v[60:61]
	v_add_f64 v[42:43], v[98:99], v[84:85]
	;; [unrolled: 1-line block ×8, first 2 shown]
	v_add_f64 v[56:57], v[64:65], -v[60:61]
	v_add_f64 v[58:59], v[98:99], -v[84:85]
	;; [unrolled: 1-line block ×8, first 2 shown]
	v_mad_u64_u32 v[80:81], null, s6, v154, 0
	v_mad_u64_u32 v[82:83], null, s4, v157, 0
	s_mul_i32 s6, s4, 0x64
	ds_store_b128 v158, v[32:35]
	ds_store_b128 v158, v[40:43] offset:640
	ds_store_b128 v158, v[44:47] offset:1280
	;; [unrolled: 1-line block ×9, first 2 shown]
	s_waitcnt lgkmcnt(0)
	s_barrier
	buffer_gl0_inv
	ds_load_b128 v[32:35], v158
	ds_load_b128 v[36:39], v158 offset:1600
	ds_load_b128 v[40:43], v158 offset:3200
	;; [unrolled: 1-line block ×7, first 2 shown]
	v_mad_u64_u32 v[84:85], null, s7, v154, v[81:82]
	v_mov_b32_e32 v81, v83
	s_mul_hi_u32 s7, s4, 0x64
	s_delay_alu instid0(SALU_CYCLE_1) | instskip(SKIP_1) | instid1(VALU_DEP_1)
	s_add_i32 s7, s7, s1
	s_sub_i32 s1, s11, s4
	v_mad_u64_u32 v[85:86], null, s5, v157, v[81:82]
	s_delay_alu instid0(VALU_DEP_3)
	v_mov_b32_e32 v81, v84
	s_lshl_b64 s[6:7], s[6:7], 4
	s_mulk_i32 s5, 0xfefc
	s_waitcnt lgkmcnt(7)
	v_mul_f64 v[64:65], v[6:7], v[34:35]
	v_mul_f64 v[6:7], v[6:7], v[32:33]
	s_waitcnt lgkmcnt(6)
	v_mul_f64 v[66:67], v[14:15], v[38:39]
	v_mul_f64 v[14:15], v[14:15], v[36:37]
	;; [unrolled: 3-line block ×8, first 2 shown]
	v_mov_b32_e32 v83, v85
	s_add_i32 s11, s1, s5
	s_delay_alu instid0(SALU_CYCLE_1)
	s_lshl_b64 s[4:5], s[10:11], 4
	v_fma_f64 v[32:33], v[4:5], v[32:33], v[64:65]
	v_fma_f64 v[4:5], v[4:5], v[34:35], -v[6:7]
	v_fma_f64 v[6:7], v[12:13], v[36:37], v[66:67]
	v_fma_f64 v[12:13], v[12:13], v[38:39], -v[14:15]
	;; [unrolled: 2-line block ×8, first 2 shown]
	v_lshlrev_b64 v[2:3], 4, v[80:81]
	v_lshlrev_b64 v[8:9], 4, v[82:83]
	s_delay_alu instid0(VALU_DEP_2) | instskip(NEXT) | instid1(VALU_DEP_1)
	v_add_co_u32 v2, s0, s8, v2
	v_add_co_ci_u32_e64 v3, s0, s9, v3, s0
	s_delay_alu instid0(VALU_DEP_2) | instskip(NEXT) | instid1(VALU_DEP_1)
	v_add_co_u32 v50, s0, v2, v8
	v_add_co_ci_u32_e64 v51, s0, v3, v9, s0
	s_delay_alu instid0(VALU_DEP_2) | instskip(NEXT) | instid1(VALU_DEP_1)
	v_add_co_u32 v52, s0, v50, s6
	v_add_co_ci_u32_e64 v53, s0, s7, v51, s0
	v_mul_f64 v[2:3], v[32:33], s[2:3]
	v_mul_f64 v[4:5], v[4:5], s[2:3]
	;; [unrolled: 1-line block ×14, first 2 shown]
	v_add_co_u32 v34, s0, v52, s6
	v_mul_f64 v[30:31], v[46:47], s[2:3]
	v_mul_f64 v[32:33], v[48:49], s[2:3]
	v_add_co_ci_u32_e64 v35, s0, s7, v53, s0
	s_delay_alu instid0(VALU_DEP_4) | instskip(NEXT) | instid1(VALU_DEP_1)
	v_add_co_u32 v36, s0, v34, s6
	v_add_co_ci_u32_e64 v37, s0, s7, v35, s0
	s_delay_alu instid0(VALU_DEP_2) | instskip(NEXT) | instid1(VALU_DEP_1)
	v_add_co_u32 v38, s0, v36, s4
	v_add_co_ci_u32_e64 v39, s0, s5, v37, s0
	s_delay_alu instid0(VALU_DEP_2) | instskip(NEXT) | instid1(VALU_DEP_1)
	;; [unrolled: 3-line block ×4, first 2 shown]
	v_add_co_u32 v0, s0, v42, s6
	v_add_co_ci_u32_e64 v1, s0, s7, v43, s0
	s_clause 0x4
	global_store_b128 v[50:51], v[2:5], off
	global_store_b128 v[52:53], v[6:9], off
	;; [unrolled: 1-line block ×8, first 2 shown]
	s_and_b32 exec_lo, exec_lo, vcc_lo
	s_cbranch_execz .LBB0_15
; %bb.14:
	s_clause 0x3
	global_load_b128 v[2:5], v[152:153], off offset:1280
	global_load_b128 v[6:9], v[152:153], off offset:2880
	;; [unrolled: 1-line block ×4, first 2 shown]
	ds_load_b128 v[18:21], v158 offset:1280
	ds_load_b128 v[22:25], v158 offset:2880
	;; [unrolled: 1-line block ×4, first 2 shown]
	v_add_co_u32 v0, vcc_lo, v0, s4
	v_add_co_ci_u32_e32 v1, vcc_lo, s5, v1, vcc_lo
	s_waitcnt vmcnt(3) lgkmcnt(3)
	v_mul_f64 v[34:35], v[20:21], v[4:5]
	v_mul_f64 v[4:5], v[18:19], v[4:5]
	s_waitcnt vmcnt(2) lgkmcnt(2)
	v_mul_f64 v[36:37], v[24:25], v[8:9]
	v_mul_f64 v[8:9], v[22:23], v[8:9]
	;; [unrolled: 3-line block ×4, first 2 shown]
	v_fma_f64 v[18:19], v[18:19], v[2:3], v[34:35]
	v_fma_f64 v[4:5], v[2:3], v[20:21], -v[4:5]
	v_fma_f64 v[20:21], v[22:23], v[6:7], v[36:37]
	v_fma_f64 v[8:9], v[6:7], v[24:25], -v[8:9]
	;; [unrolled: 2-line block ×4, first 2 shown]
	v_mul_f64 v[2:3], v[18:19], s[2:3]
	v_mul_f64 v[4:5], v[4:5], s[2:3]
	v_mul_f64 v[6:7], v[20:21], s[2:3]
	v_mul_f64 v[8:9], v[8:9], s[2:3]
	v_mul_f64 v[10:11], v[22:23], s[2:3]
	v_mul_f64 v[12:13], v[12:13], s[2:3]
	v_mul_f64 v[14:15], v[24:25], s[2:3]
	v_mul_f64 v[16:17], v[16:17], s[2:3]
	v_add_co_u32 v18, vcc_lo, v0, s6
	v_add_co_ci_u32_e32 v19, vcc_lo, s7, v1, vcc_lo
	s_delay_alu instid0(VALU_DEP_2) | instskip(NEXT) | instid1(VALU_DEP_2)
	v_add_co_u32 v20, vcc_lo, v18, s6
	v_add_co_ci_u32_e32 v21, vcc_lo, s7, v19, vcc_lo
	s_delay_alu instid0(VALU_DEP_2) | instskip(NEXT) | instid1(VALU_DEP_2)
	v_add_co_u32 v22, vcc_lo, v20, s6
	v_add_co_ci_u32_e32 v23, vcc_lo, s7, v21, vcc_lo
	global_store_b128 v[0:1], v[2:5], off
	global_store_b128 v[18:19], v[6:9], off
	;; [unrolled: 1-line block ×4, first 2 shown]
.LBB0_15:
	s_nop 0
	s_sendmsg sendmsg(MSG_DEALLOC_VGPRS)
	s_endpgm
	.section	.rodata,"a",@progbits
	.p2align	6, 0x0
	.amdhsa_kernel bluestein_single_fwd_len400_dim1_dp_op_CI_CI
		.amdhsa_group_segment_fixed_size 19200
		.amdhsa_private_segment_fixed_size 0
		.amdhsa_kernarg_size 104
		.amdhsa_user_sgpr_count 15
		.amdhsa_user_sgpr_dispatch_ptr 0
		.amdhsa_user_sgpr_queue_ptr 0
		.amdhsa_user_sgpr_kernarg_segment_ptr 1
		.amdhsa_user_sgpr_dispatch_id 0
		.amdhsa_user_sgpr_private_segment_size 0
		.amdhsa_wavefront_size32 1
		.amdhsa_uses_dynamic_stack 0
		.amdhsa_enable_private_segment 0
		.amdhsa_system_sgpr_workgroup_id_x 1
		.amdhsa_system_sgpr_workgroup_id_y 0
		.amdhsa_system_sgpr_workgroup_id_z 0
		.amdhsa_system_sgpr_workgroup_info 0
		.amdhsa_system_vgpr_workitem_id 0
		.amdhsa_next_free_vgpr 224
		.amdhsa_next_free_sgpr 22
		.amdhsa_reserve_vcc 1
		.amdhsa_float_round_mode_32 0
		.amdhsa_float_round_mode_16_64 0
		.amdhsa_float_denorm_mode_32 3
		.amdhsa_float_denorm_mode_16_64 3
		.amdhsa_dx10_clamp 1
		.amdhsa_ieee_mode 1
		.amdhsa_fp16_overflow 0
		.amdhsa_workgroup_processor_mode 1
		.amdhsa_memory_ordered 1
		.amdhsa_forward_progress 0
		.amdhsa_shared_vgpr_count 0
		.amdhsa_exception_fp_ieee_invalid_op 0
		.amdhsa_exception_fp_denorm_src 0
		.amdhsa_exception_fp_ieee_div_zero 0
		.amdhsa_exception_fp_ieee_overflow 0
		.amdhsa_exception_fp_ieee_underflow 0
		.amdhsa_exception_fp_ieee_inexact 0
		.amdhsa_exception_int_div_zero 0
	.end_amdhsa_kernel
	.text
.Lfunc_end0:
	.size	bluestein_single_fwd_len400_dim1_dp_op_CI_CI, .Lfunc_end0-bluestein_single_fwd_len400_dim1_dp_op_CI_CI
                                        ; -- End function
	.section	.AMDGPU.csdata,"",@progbits
; Kernel info:
; codeLenInByte = 11992
; NumSgprs: 24
; NumVgprs: 224
; ScratchSize: 0
; MemoryBound: 0
; FloatMode: 240
; IeeeMode: 1
; LDSByteSize: 19200 bytes/workgroup (compile time only)
; SGPRBlocks: 2
; VGPRBlocks: 27
; NumSGPRsForWavesPerEU: 24
; NumVGPRsForWavesPerEU: 224
; Occupancy: 6
; WaveLimiterHint : 1
; COMPUTE_PGM_RSRC2:SCRATCH_EN: 0
; COMPUTE_PGM_RSRC2:USER_SGPR: 15
; COMPUTE_PGM_RSRC2:TRAP_HANDLER: 0
; COMPUTE_PGM_RSRC2:TGID_X_EN: 1
; COMPUTE_PGM_RSRC2:TGID_Y_EN: 0
; COMPUTE_PGM_RSRC2:TGID_Z_EN: 0
; COMPUTE_PGM_RSRC2:TIDIG_COMP_CNT: 0
	.text
	.p2alignl 7, 3214868480
	.fill 96, 4, 3214868480
	.type	__hip_cuid_311a8d8d3fcbba70,@object ; @__hip_cuid_311a8d8d3fcbba70
	.section	.bss,"aw",@nobits
	.globl	__hip_cuid_311a8d8d3fcbba70
__hip_cuid_311a8d8d3fcbba70:
	.byte	0                               ; 0x0
	.size	__hip_cuid_311a8d8d3fcbba70, 1

	.ident	"AMD clang version 19.0.0git (https://github.com/RadeonOpenCompute/llvm-project roc-6.4.0 25133 c7fe45cf4b819c5991fe208aaa96edf142730f1d)"
	.section	".note.GNU-stack","",@progbits
	.addrsig
	.addrsig_sym __hip_cuid_311a8d8d3fcbba70
	.amdgpu_metadata
---
amdhsa.kernels:
  - .args:
      - .actual_access:  read_only
        .address_space:  global
        .offset:         0
        .size:           8
        .value_kind:     global_buffer
      - .actual_access:  read_only
        .address_space:  global
        .offset:         8
        .size:           8
        .value_kind:     global_buffer
      - .actual_access:  read_only
        .address_space:  global
        .offset:         16
        .size:           8
        .value_kind:     global_buffer
      - .actual_access:  read_only
        .address_space:  global
        .offset:         24
        .size:           8
        .value_kind:     global_buffer
      - .actual_access:  read_only
        .address_space:  global
        .offset:         32
        .size:           8
        .value_kind:     global_buffer
      - .offset:         40
        .size:           8
        .value_kind:     by_value
      - .address_space:  global
        .offset:         48
        .size:           8
        .value_kind:     global_buffer
      - .address_space:  global
        .offset:         56
        .size:           8
        .value_kind:     global_buffer
      - .address_space:  global
        .offset:         64
        .size:           8
        .value_kind:     global_buffer
      - .address_space:  global
        .offset:         72
        .size:           8
        .value_kind:     global_buffer
      - .offset:         80
        .size:           4
        .value_kind:     by_value
      - .address_space:  global
        .offset:         88
        .size:           8
        .value_kind:     global_buffer
      - .address_space:  global
        .offset:         96
        .size:           8
        .value_kind:     global_buffer
    .group_segment_fixed_size: 19200
    .kernarg_segment_align: 8
    .kernarg_segment_size: 104
    .language:       OpenCL C
    .language_version:
      - 2
      - 0
    .max_flat_workgroup_size: 120
    .name:           bluestein_single_fwd_len400_dim1_dp_op_CI_CI
    .private_segment_fixed_size: 0
    .sgpr_count:     24
    .sgpr_spill_count: 0
    .symbol:         bluestein_single_fwd_len400_dim1_dp_op_CI_CI.kd
    .uniform_work_group_size: 1
    .uses_dynamic_stack: false
    .vgpr_count:     224
    .vgpr_spill_count: 0
    .wavefront_size: 32
    .workgroup_processor_mode: 1
amdhsa.target:   amdgcn-amd-amdhsa--gfx1100
amdhsa.version:
  - 1
  - 2
...

	.end_amdgpu_metadata
